;; amdgpu-corpus repo=ROCm/rocFFT kind=compiled arch=gfx90a opt=O3
	.text
	.amdgcn_target "amdgcn-amd-amdhsa--gfx90a"
	.amdhsa_code_object_version 6
	.protected	bluestein_single_back_len11_dim1_dp_op_CI_CI ; -- Begin function bluestein_single_back_len11_dim1_dp_op_CI_CI
	.globl	bluestein_single_back_len11_dim1_dp_op_CI_CI
	.p2align	8
	.type	bluestein_single_back_len11_dim1_dp_op_CI_CI,@function
bluestein_single_back_len11_dim1_dp_op_CI_CI: ; @bluestein_single_back_len11_dim1_dp_op_CI_CI
; %bb.0:
	s_load_dwordx4 s[12:15], s[4:5], 0x28
	v_lshl_or_b32 v24, s6, 7, v0
	v_mov_b32_e32 v25, 0
	s_waitcnt lgkmcnt(0)
	v_cmp_gt_u64_e32 vcc, s[12:13], v[24:25]
	s_and_saveexec_b64 s[0:1], vcc
	s_cbranch_execz .LBB0_2
; %bb.1:
	s_load_dwordx4 s[0:3], s[4:5], 0x18
	v_mov_b32_e32 v1, s15
	v_mov_b32_e32 v28, 0x50
	;; [unrolled: 1-line block ×4, first 2 shown]
	s_waitcnt lgkmcnt(0)
	s_load_dwordx4 s[8:11], s[0:1], 0x0
	s_mov_b32 s90, 0xbb3a28a1
	s_mov_b32 s68, 0xfd768dbf
	;; [unrolled: 1-line block ×4, first 2 shown]
	s_waitcnt lgkmcnt(0)
	v_mad_u64_u32 v[2:3], s[0:1], s10, v24, 0
	v_mov_b32_e32 v4, v3
	v_mad_u64_u32 v[4:5], s[6:7], s11, v24, v[4:5]
	v_mov_b32_e32 v3, v4
	v_lshlrev_b64 v[2:3], 4, v[2:3]
	v_add_co_u32_e32 v22, vcc, s14, v2
	s_lshl_b64 s[0:1], s[8:9], 4
	v_addc_co_u32_e32 v23, vcc, v1, v3, vcc
	v_mov_b32_e32 v6, s1
	v_add_co_u32_e32 v10, vcc, s0, v22
	v_addc_co_u32_e32 v11, vcc, v23, v6, vcc
	s_lshl_b64 s[0:1], s[8:9], 5
	global_load_dwordx4 v[6:9], v[22:23], off
	global_load_dwordx4 v[2:5], v[10:11], off
	v_mov_b32_e32 v1, s1
	v_add_co_u32_e32 v10, vcc, s0, v22
	v_mad_u64_u32 v[14:15], s[0:1], s8, 48, v[22:23]
	v_mov_b32_e32 v16, v15
	v_mad_u64_u32 v[16:17], s[0:1], s9, 48, v[16:17]
	v_addc_co_u32_e32 v11, vcc, v23, v1, vcc
	s_lshl_b64 s[0:1], s[8:9], 6
	global_load_dwordx4 v[10:13], v[10:11], off
	v_mov_b32_e32 v15, v16
	global_load_dwordx4 v[14:17], v[14:15], off
	v_mov_b32_e32 v1, s1
	v_add_co_u32_e32 v18, vcc, s0, v22
	v_mad_u64_u32 v[26:27], s[0:1], s8, v28, v[22:23]
	s_mul_i32 s0, s9, 0x50
	v_addc_co_u32_e32 v19, vcc, v23, v1, vcc
	v_add_u32_e32 v27, s0, v27
	v_mad_u64_u32 v[30:31], s[0:1], s8, v25, v[22:23]
	global_load_dwordx4 v[18:21], v[18:19], off
	s_mul_i32 s0, s9, 0x60
	v_add_u32_e32 v31, s0, v31
	global_load_dwordx4 v[32:35], v[26:27], off
	global_load_dwordx4 v[36:39], v[30:31], off
	v_mov_b32_e32 v26, 0x70
	v_mad_u64_u32 v[30:31], s[0:1], s8, v26, v[22:23]
	s_mul_i32 s0, s9, 0x70
	v_add_u32_e32 v31, s0, v31
	s_lshl_b64 s[0:1], s[8:9], 7
	global_load_dwordx4 v[40:43], v[30:31], off
	v_mov_b32_e32 v1, s1
	v_add_co_u32_e32 v30, vcc, s0, v22
	v_addc_co_u32_e32 v31, vcc, v23, v1, vcc
	v_mov_b32_e32 v27, 0x90
	global_load_dwordx4 v[44:47], v[30:31], off
	v_mad_u64_u32 v[30:31], s[0:1], s8, v27, v[22:23]
	s_mul_i32 s0, s9, 0x90
	v_add_u32_e32 v31, s0, v31
	v_mad_u64_u32 v[22:23], s[0:1], s8, v29, v[22:23]
	global_load_dwordx4 v[48:51], v[30:31], off
	s_mul_i32 s0, s9, 0xa0
	v_add_u32_e32 v23, s0, v23
	global_load_dwordx4 v[52:55], v[22:23], off
	s_load_dwordx2 s[0:1], s[4:5], 0x0
	v_mul_u32_u24_e32 v30, 0xb0, v0
	s_mov_b32 s6, 0xf8bb580b
	s_mov_b32 s10, 0x8eee2c13
	;; [unrolled: 1-line block ×3, first 2 shown]
	s_waitcnt lgkmcnt(0)
	s_load_dwordx16 s[52:67], s[0:1], 0x0
	s_load_dwordx4 s[28:31], s[2:3], 0x0
	s_load_dwordx16 s[36:51], s[0:1], 0x40
	s_mov_b32 s2, 0x43842ef
	s_mov_b32 s11, 0xbfed1bb4
	;; [unrolled: 1-line block ×13, first 2 shown]
	s_mov_b32 vcc_hi, 0x3fd207e7
	s_mov_b32 vcc_lo, s68
	s_mov_b32 s95, 0x3fefac9e
	s_mov_b32 s94, s2
	;; [unrolled: 1-line block ×3, first 2 shown]
	s_waitcnt vmcnt(10) lgkmcnt(0)
	v_mul_f64 v[0:1], v[6:7], s[54:55]
	v_mul_f64 v[56:57], v[8:9], s[54:55]
	v_fma_f64 v[58:59], v[8:9], s[52:53], -v[0:1]
	s_waitcnt vmcnt(9)
	v_mul_f64 v[0:1], v[4:5], s[58:59]
	v_mul_f64 v[8:9], v[2:3], s[58:59]
	v_fmac_f64_e32 v[56:57], s[52:53], v[6:7]
	v_fmac_f64_e32 v[0:1], s[56:57], v[2:3]
	v_fma_f64 v[2:3], v[4:5], s[56:57], -v[8:9]
	ds_write_b128 v30, v[56:59]
	s_mov_b32 s86, s6
	s_waitcnt vmcnt(8)
	v_mul_f64 v[6:7], v[12:13], s[62:63]
	v_mul_f64 v[22:23], v[10:11], s[62:63]
	v_fmac_f64_e32 v[6:7], s[60:61], v[10:11]
	v_fma_f64 v[8:9], v[12:13], s[60:61], -v[22:23]
	ds_write_b128 v30, v[0:3] offset:16
	ds_write_b128 v30, v[6:9] offset:32
	s_waitcnt vmcnt(7)
	v_mul_f64 v[0:1], v[16:17], s[66:67]
	v_mul_f64 v[2:3], v[14:15], s[66:67]
	v_fmac_f64_e32 v[0:1], s[64:65], v[14:15]
	v_fma_f64 v[2:3], v[16:17], s[64:65], -v[2:3]
	ds_write_b128 v30, v[0:3] offset:48
	s_load_dwordx16 s[12:27], s[0:1], 0x80
	s_waitcnt vmcnt(6)
	v_mul_f64 v[0:1], v[20:21], s[38:39]
	v_mul_f64 v[2:3], v[18:19], s[38:39]
	v_fmac_f64_e32 v[0:1], s[36:37], v[18:19]
	v_fma_f64 v[2:3], v[20:21], s[36:37], -v[2:3]
	ds_write_b128 v30, v[0:3] offset:64
	s_waitcnt vmcnt(5)
	v_mul_f64 v[0:1], v[34:35], s[42:43]
	v_mul_f64 v[2:3], v[32:33], s[42:43]
	v_fmac_f64_e32 v[0:1], s[40:41], v[32:33]
	v_fma_f64 v[2:3], v[34:35], s[40:41], -v[2:3]
	ds_write_b128 v30, v[0:3] offset:80
	;; [unrolled: 6-line block ×4, first 2 shown]
	s_waitcnt vmcnt(2) lgkmcnt(0)
	v_mul_f64 v[0:1], v[46:47], s[14:15]
	v_mul_f64 v[2:3], v[44:45], s[14:15]
	v_fmac_f64_e32 v[0:1], s[12:13], v[44:45]
	v_fma_f64 v[2:3], v[46:47], s[12:13], -v[2:3]
	ds_write_b128 v30, v[0:3] offset:128
	s_waitcnt vmcnt(1)
	v_mul_f64 v[0:1], v[50:51], s[18:19]
	v_mul_f64 v[2:3], v[48:49], s[18:19]
	v_fmac_f64_e32 v[0:1], s[16:17], v[48:49]
	v_fma_f64 v[2:3], v[50:51], s[16:17], -v[2:3]
	ds_write_b128 v30, v[0:3] offset:144
	s_waitcnt vmcnt(0)
	v_mul_f64 v[0:1], v[54:55], s[22:23]
	v_mul_f64 v[2:3], v[52:53], s[22:23]
	v_fmac_f64_e32 v[0:1], s[20:21], v[52:53]
	v_fma_f64 v[2:3], v[54:55], s[20:21], -v[2:3]
	ds_write_b128 v30, v[0:3] offset:160
	s_waitcnt lgkmcnt(0)
	s_barrier
	ds_read_b128 v[32:35], v30
	ds_read_b128 v[36:39], v30 offset:16
	ds_read_b128 v[40:43], v30 offset:32
	;; [unrolled: 1-line block ×10, first 2 shown]
	s_waitcnt lgkmcnt(9)
	v_add_f64 v[0:1], v[32:33], v[36:37]
	v_add_f64 v[2:3], v[34:35], v[38:39]
	s_waitcnt lgkmcnt(8)
	v_add_f64 v[0:1], v[0:1], v[40:41]
	v_add_f64 v[2:3], v[2:3], v[42:43]
	s_waitcnt lgkmcnt(7)
	v_add_f64 v[0:1], v[0:1], v[20:21]
	v_add_f64 v[2:3], v[2:3], v[22:23]
	s_waitcnt lgkmcnt(6)
	v_add_f64 v[0:1], v[0:1], v[12:13]
	v_add_f64 v[2:3], v[2:3], v[14:15]
	s_waitcnt lgkmcnt(5)
	v_add_f64 v[0:1], v[0:1], v[4:5]
	v_add_f64 v[2:3], v[2:3], v[6:7]
	s_waitcnt lgkmcnt(4)
	v_add_f64 v[0:1], v[0:1], v[8:9]
	v_add_f64 v[2:3], v[2:3], v[10:11]
	s_waitcnt lgkmcnt(3)
	v_add_f64 v[0:1], v[0:1], v[16:17]
	v_add_f64 v[2:3], v[2:3], v[18:19]
	s_waitcnt lgkmcnt(2)
	v_add_f64 v[0:1], v[0:1], v[44:45]
	v_add_f64 v[2:3], v[2:3], v[46:47]
	s_waitcnt lgkmcnt(1)
	v_add_f64 v[0:1], v[0:1], v[48:49]
	s_waitcnt lgkmcnt(0)
	v_add_f64 v[58:59], v[38:39], v[54:55]
	v_add_f64 v[38:39], v[38:39], -v[54:55]
	v_add_f64 v[2:3], v[2:3], v[50:51]
	v_add_f64 v[0:1], v[0:1], v[52:53]
	;; [unrolled: 1-line block ×3, first 2 shown]
	v_add_f64 v[36:37], v[36:37], -v[52:53]
	v_mul_f64 v[52:53], v[38:39], s[6:7]
	v_mul_f64 v[64:65], v[38:39], s[10:11]
	;; [unrolled: 1-line block ×5, first 2 shown]
	v_add_f64 v[2:3], v[2:3], v[54:55]
	v_fma_f64 v[54:55], v[56:57], s[88:89], -v[52:53]
	v_mul_f64 v[60:61], v[36:37], s[6:7]
	v_fmac_f64_e32 v[52:53], s[88:89], v[56:57]
	v_fma_f64 v[66:67], v[56:57], s[34:35], -v[64:65]
	v_mul_f64 v[68:69], v[36:37], s[10:11]
	v_fmac_f64_e32 v[64:65], s[34:35], v[56:57]
	;; [unrolled: 3-line block ×5, first 2 shown]
	v_add_f64 v[54:55], v[32:33], v[54:55]
	v_fma_f64 v[62:63], s[88:89], v[58:59], v[60:61]
	v_add_f64 v[52:53], v[32:33], v[52:53]
	v_fma_f64 v[60:61], v[58:59], s[88:89], -v[60:61]
	v_add_f64 v[66:67], v[32:33], v[66:67]
	v_fma_f64 v[70:71], s[34:35], v[58:59], v[68:69]
	v_add_f64 v[64:65], v[32:33], v[64:65]
	v_fma_f64 v[68:69], v[58:59], s[34:35], -v[68:69]
	;; [unrolled: 4-line block ×5, first 2 shown]
	v_add_f64 v[38:39], v[42:43], v[50:51]
	v_add_f64 v[42:43], v[42:43], -v[50:51]
	v_add_f64 v[62:63], v[34:35], v[62:63]
	v_add_f64 v[60:61], v[34:35], v[60:61]
	v_add_f64 v[70:71], v[34:35], v[70:71]
	v_add_f64 v[68:69], v[34:35], v[68:69]
	v_add_f64 v[78:79], v[34:35], v[78:79]
	v_add_f64 v[76:77], v[34:35], v[76:77]
	v_add_f64 v[86:87], v[34:35], v[86:87]
	v_add_f64 v[84:85], v[34:35], v[84:85]
	v_add_f64 v[90:91], v[34:35], v[90:91]
	v_add_f64 v[34:35], v[34:35], v[36:37]
	v_add_f64 v[36:37], v[40:41], v[48:49]
	v_add_f64 v[40:41], v[40:41], -v[48:49]
	v_mul_f64 v[48:49], v[42:43], s[10:11]
	v_fma_f64 v[50:51], v[36:37], s[34:35], -v[48:49]
	v_add_f64 v[50:51], v[50:51], v[54:55]
	v_mul_f64 v[54:55], v[40:41], s[10:11]
	v_fmac_f64_e32 v[48:49], s[34:35], v[36:37]
	v_fma_f64 v[56:57], s[34:35], v[38:39], v[54:55]
	v_add_f64 v[48:49], v[48:49], v[52:53]
	v_fma_f64 v[52:53], v[38:39], s[34:35], -v[54:55]
	v_mul_f64 v[54:55], v[42:43], s[90:91]
	v_add_f64 v[52:53], v[52:53], v[60:61]
	v_fma_f64 v[58:59], v[36:37], s[92:93], -v[54:55]
	v_mul_f64 v[60:61], v[40:41], s[90:91]
	v_fmac_f64_e32 v[54:55], s[92:93], v[36:37]
	v_add_f64 v[56:57], v[56:57], v[62:63]
	v_fma_f64 v[62:63], s[92:93], v[38:39], v[60:61]
	v_add_f64 v[54:55], v[54:55], v[64:65]
	v_fma_f64 v[60:61], v[38:39], s[92:93], -v[60:61]
	v_mul_f64 v[64:65], v[42:43], vcc
	v_add_f64 v[58:59], v[58:59], v[66:67]
	v_add_f64 v[60:61], v[60:61], v[68:69]
	v_fma_f64 v[66:67], v[36:37], s[8:9], -v[64:65]
	v_mul_f64 v[68:69], v[40:41], vcc
	v_fmac_f64_e32 v[64:65], s[8:9], v[36:37]
	v_add_f64 v[62:63], v[62:63], v[70:71]
	v_fma_f64 v[70:71], s[8:9], v[38:39], v[68:69]
	v_add_f64 v[64:65], v[64:65], v[72:73]
	v_fma_f64 v[68:69], v[38:39], s[8:9], -v[68:69]
	v_mul_f64 v[72:73], v[42:43], s[94:95]
	v_add_f64 v[66:67], v[66:67], v[74:75]
	v_add_f64 v[68:69], v[68:69], v[76:77]
	v_fma_f64 v[74:75], v[36:37], s[84:85], -v[72:73]
	v_mul_f64 v[76:77], v[40:41], s[94:95]
	v_fmac_f64_e32 v[72:73], s[84:85], v[36:37]
	v_mul_f64 v[42:43], v[42:43], s[86:87]
	v_mul_f64 v[40:41], v[40:41], s[86:87]
	v_add_f64 v[70:71], v[70:71], v[78:79]
	v_add_f64 v[74:75], v[74:75], v[82:83]
	v_fma_f64 v[78:79], s[84:85], v[38:39], v[76:77]
	v_add_f64 v[72:73], v[72:73], v[80:81]
	v_fma_f64 v[76:77], v[38:39], s[84:85], -v[76:77]
	v_fma_f64 v[80:81], v[36:37], s[88:89], -v[42:43]
	v_fma_f64 v[82:83], s[88:89], v[38:39], v[40:41]
	v_fmac_f64_e32 v[42:43], s[88:89], v[36:37]
	v_fma_f64 v[36:37], v[38:39], s[88:89], -v[40:41]
	v_add_f64 v[38:39], v[22:23], v[46:47]
	v_add_f64 v[22:23], v[22:23], -v[46:47]
	v_add_f64 v[34:35], v[36:37], v[34:35]
	v_add_f64 v[36:37], v[20:21], v[44:45]
	v_add_f64 v[20:21], v[20:21], -v[44:45]
	v_mul_f64 v[40:41], v[22:23], s[2:3]
	v_add_f64 v[32:33], v[42:43], v[32:33]
	v_fma_f64 v[42:43], v[36:37], s[84:85], -v[40:41]
	v_mul_f64 v[44:45], v[20:21], s[2:3]
	v_fmac_f64_e32 v[40:41], s[84:85], v[36:37]
	v_fma_f64 v[46:47], s[84:85], v[38:39], v[44:45]
	v_add_f64 v[40:41], v[40:41], v[48:49]
	v_fma_f64 v[44:45], v[38:39], s[84:85], -v[44:45]
	v_mul_f64 v[48:49], v[22:23], vcc
	v_add_f64 v[42:43], v[42:43], v[50:51]
	v_add_f64 v[44:45], v[44:45], v[52:53]
	v_fma_f64 v[50:51], v[36:37], s[8:9], -v[48:49]
	v_mul_f64 v[52:53], v[20:21], vcc
	v_fmac_f64_e32 v[48:49], s[8:9], v[36:37]
	s_mov_b32 s11, 0x3fed1bb4
	v_add_f64 v[46:47], v[46:47], v[56:57]
	v_fma_f64 v[56:57], s[8:9], v[38:39], v[52:53]
	v_add_f64 v[48:49], v[48:49], v[54:55]
	v_fma_f64 v[52:53], v[38:39], s[8:9], -v[52:53]
	v_mul_f64 v[54:55], v[22:23], s[10:11]
	v_add_f64 v[50:51], v[50:51], v[58:59]
	v_add_f64 v[52:53], v[52:53], v[60:61]
	v_fma_f64 v[58:59], v[36:37], s[34:35], -v[54:55]
	v_mul_f64 v[60:61], v[20:21], s[10:11]
	v_fmac_f64_e32 v[54:55], s[34:35], v[36:37]
	v_add_f64 v[56:57], v[56:57], v[62:63]
	v_fma_f64 v[62:63], s[34:35], v[38:39], v[60:61]
	v_add_f64 v[54:55], v[54:55], v[64:65]
	v_fma_f64 v[60:61], v[38:39], s[34:35], -v[60:61]
	v_mul_f64 v[64:65], v[22:23], s[6:7]
	v_add_f64 v[58:59], v[58:59], v[66:67]
	v_add_f64 v[60:61], v[60:61], v[68:69]
	v_fma_f64 v[66:67], v[36:37], s[88:89], -v[64:65]
	v_mul_f64 v[68:69], v[20:21], s[6:7]
	v_mul_f64 v[20:21], v[20:21], s[90:91]
	v_add_f64 v[66:67], v[66:67], v[74:75]
	v_fmac_f64_e32 v[64:65], s[88:89], v[36:37]
	v_mul_f64 v[22:23], v[22:23], s[90:91]
	v_fma_f64 v[74:75], s[92:93], v[38:39], v[20:21]
	v_fma_f64 v[20:21], v[38:39], s[92:93], -v[20:21]
	v_add_f64 v[64:65], v[64:65], v[72:73]
	v_fma_f64 v[72:73], v[36:37], s[92:93], -v[22:23]
	v_fmac_f64_e32 v[22:23], s[92:93], v[36:37]
	v_add_f64 v[20:21], v[20:21], v[34:35]
	v_add_f64 v[34:35], v[14:15], v[18:19]
	v_add_f64 v[14:15], v[14:15], -v[18:19]
	v_add_f64 v[22:23], v[22:23], v[32:33]
	v_add_f64 v[32:33], v[12:13], v[16:17]
	v_add_f64 v[12:13], v[12:13], -v[16:17]
	v_mul_f64 v[16:17], v[14:15], s[90:91]
	v_fma_f64 v[18:19], v[32:33], s[92:93], -v[16:17]
	v_fmac_f64_e32 v[16:17], s[92:93], v[32:33]
	v_add_f64 v[16:17], v[16:17], v[40:41]
	v_mul_f64 v[40:41], v[14:15], s[94:95]
	v_add_f64 v[18:19], v[18:19], v[42:43]
	v_fma_f64 v[42:43], v[32:33], s[84:85], -v[40:41]
	v_fmac_f64_e32 v[40:41], s[84:85], v[32:33]
	v_mul_f64 v[36:37], v[12:13], s[90:91]
	v_add_f64 v[40:41], v[40:41], v[48:49]
	v_mul_f64 v[48:49], v[14:15], s[6:7]
	v_add_f64 v[62:63], v[62:63], v[70:71]
	v_fma_f64 v[70:71], s[88:89], v[38:39], v[68:69]
	v_fma_f64 v[68:69], v[38:39], s[88:89], -v[68:69]
	v_fma_f64 v[38:39], s[92:93], v[34:35], v[36:37]
	v_fma_f64 v[36:37], v[34:35], s[92:93], -v[36:37]
	v_add_f64 v[42:43], v[42:43], v[50:51]
	v_fma_f64 v[50:51], v[32:33], s[88:89], -v[48:49]
	v_fmac_f64_e32 v[48:49], s[88:89], v[32:33]
	v_add_f64 v[36:37], v[36:37], v[44:45]
	v_mul_f64 v[44:45], v[12:13], s[94:95]
	v_add_f64 v[48:49], v[48:49], v[54:55]
	v_mul_f64 v[54:55], v[14:15], s[68:69]
	v_add_f64 v[78:79], v[78:79], v[86:87]
	v_add_f64 v[80:81], v[80:81], v[88:89]
	;; [unrolled: 1-line block ×3, first 2 shown]
	v_fma_f64 v[46:47], s[84:85], v[34:35], v[44:45]
	v_fma_f64 v[44:45], v[34:35], s[84:85], -v[44:45]
	v_add_f64 v[50:51], v[50:51], v[58:59]
	v_fma_f64 v[58:59], v[32:33], s[8:9], -v[54:55]
	v_fmac_f64_e32 v[54:55], s[8:9], v[32:33]
	v_mul_f64 v[14:15], v[14:15], s[10:11]
	v_add_f64 v[76:77], v[76:77], v[84:85]
	v_add_f64 v[70:71], v[70:71], v[78:79]
	;; [unrolled: 1-line block ×4, first 2 shown]
	v_mul_f64 v[52:53], v[12:13], s[6:7]
	v_add_f64 v[54:55], v[54:55], v[64:65]
	v_fma_f64 v[64:65], v[32:33], s[34:35], -v[14:15]
	v_add_f64 v[78:79], v[6:7], -v[10:11]
	v_add_f64 v[68:69], v[68:69], v[76:77]
	v_add_f64 v[46:47], v[46:47], v[56:57]
	v_fma_f64 v[56:57], s[88:89], v[34:35], v[52:53]
	v_fma_f64 v[52:53], v[34:35], s[88:89], -v[52:53]
	v_add_f64 v[64:65], v[64:65], v[72:73]
	v_add_f64 v[72:73], v[4:5], v[8:9]
	v_add_f64 v[76:77], v[4:5], -v[8:9]
	v_mul_f64 v[8:9], v[78:79], s[68:69]
	v_add_f64 v[82:83], v[82:83], v[90:91]
	v_add_f64 v[52:53], v[52:53], v[60:61]
	v_mul_f64 v[60:61], v[12:13], s[68:69]
	v_mul_f64 v[12:13], v[12:13], s[10:11]
	v_fma_f64 v[4:5], v[72:73], s[8:9], -v[8:9]
	v_fmac_f64_e32 v[8:9], s[8:9], v[72:73]
	v_add_f64 v[74:75], v[74:75], v[82:83]
	v_add_f64 v[56:57], v[56:57], v[62:63]
	;; [unrolled: 1-line block ×3, first 2 shown]
	v_fma_f64 v[62:63], s[8:9], v[34:35], v[60:61]
	v_fma_f64 v[66:67], s[34:35], v[34:35], v[12:13]
	v_fmac_f64_e32 v[14:15], s[34:35], v[32:33]
	v_fma_f64 v[12:13], v[34:35], s[34:35], -v[12:13]
	v_add_f64 v[8:9], v[8:9], v[16:17]
	v_mul_f64 v[16:17], v[78:79], s[86:87]
	v_mul_f64 v[32:33], v[78:79], s[90:91]
	v_add_f64 v[62:63], v[62:63], v[70:71]
	v_fma_f64 v[60:61], v[34:35], s[8:9], -v[60:61]
	v_add_f64 v[66:67], v[66:67], v[74:75]
	v_add_f64 v[70:71], v[12:13], v[20:21]
	v_add_f64 v[74:75], v[6:7], v[10:11]
	v_add_f64 v[4:5], v[4:5], v[18:19]
	v_mul_f64 v[10:11], v[76:77], s[68:69]
	v_fma_f64 v[12:13], v[72:73], s[88:89], -v[16:17]
	v_mul_f64 v[18:19], v[76:77], s[86:87]
	v_fmac_f64_e32 v[16:17], s[88:89], v[72:73]
	v_fma_f64 v[20:21], v[72:73], s[92:93], -v[32:33]
	v_fmac_f64_e32 v[32:33], s[92:93], v[72:73]
	v_add_f64 v[60:61], v[60:61], v[68:69]
	v_add_f64 v[68:69], v[14:15], v[22:23]
	v_fma_f64 v[6:7], s[8:9], v[74:75], v[10:11]
	v_fma_f64 v[10:11], v[74:75], s[8:9], -v[10:11]
	v_add_f64 v[12:13], v[12:13], v[42:43]
	v_fma_f64 v[14:15], s[88:89], v[74:75], v[18:19]
	v_add_f64 v[16:17], v[16:17], v[40:41]
	v_fma_f64 v[18:19], v[74:75], s[88:89], -v[18:19]
	v_add_f64 v[20:21], v[20:21], v[50:51]
	v_mul_f64 v[34:35], v[76:77], s[90:91]
	v_add_f64 v[32:33], v[32:33], v[48:49]
	v_mul_f64 v[40:41], v[78:79], s[10:11]
	v_mul_f64 v[42:43], v[76:77], s[10:11]
	v_mul_f64 v[48:49], v[78:79], s[2:3]
	v_mul_f64 v[50:51], v[76:77], s[2:3]
	v_add_f64 v[6:7], v[6:7], v[38:39]
	v_add_f64 v[10:11], v[10:11], v[36:37]
	;; [unrolled: 1-line block ×4, first 2 shown]
	v_fma_f64 v[22:23], s[92:93], v[74:75], v[34:35]
	v_fma_f64 v[34:35], v[74:75], s[92:93], -v[34:35]
	v_fma_f64 v[36:37], v[72:73], s[34:35], -v[40:41]
	v_fma_f64 v[38:39], s[34:35], v[74:75], v[42:43]
	v_fmac_f64_e32 v[40:41], s[34:35], v[72:73]
	v_fma_f64 v[42:43], v[74:75], s[34:35], -v[42:43]
	v_fma_f64 v[44:45], v[72:73], s[84:85], -v[48:49]
	v_fma_f64 v[46:47], s[84:85], v[74:75], v[50:51]
	v_fmac_f64_e32 v[48:49], s[84:85], v[72:73]
	v_fma_f64 v[50:51], v[74:75], s[84:85], -v[50:51]
	v_add_f64 v[22:23], v[22:23], v[56:57]
	v_add_f64 v[34:35], v[34:35], v[52:53]
	;; [unrolled: 1-line block ×10, first 2 shown]
	ds_write_b128 v30, v[0:3]
	ds_write_b128 v30, v[4:7] offset:16
	ds_write_b128 v30, v[12:15] offset:32
	;; [unrolled: 1-line block ×10, first 2 shown]
	s_waitcnt lgkmcnt(0)
	s_barrier
	ds_read_b128 v[0:3], v30 offset:16
	ds_read_b128 v[4:7], v30 offset:32
	;; [unrolled: 1-line block ×3, first 2 shown]
	s_load_dwordx16 s[68:83], s[0:1], 0xc0
	s_waitcnt lgkmcnt(0)
	v_mul_f64 v[12:13], v[2:3], s[70:71]
	v_mul_f64 v[14:15], v[0:1], s[70:71]
	v_fma_f64 v[12:13], v[0:1], s[68:69], -v[12:13]
	v_fmac_f64_e32 v[14:15], s[68:69], v[2:3]
	v_mul_f64 v[0:1], v[6:7], s[74:75]
	v_mul_f64 v[2:3], v[4:5], s[74:75]
	v_fma_f64 v[0:1], v[4:5], s[72:73], -v[0:1]
	v_fmac_f64_e32 v[2:3], s[72:73], v[6:7]
	ds_read_b128 v[4:7], v30 offset:64
	v_mul_f64 v[16:17], v[10:11], s[78:79]
	v_mul_f64 v[22:23], v[8:9], s[78:79]
	v_fma_f64 v[20:21], v[8:9], s[76:77], -v[16:17]
	v_fmac_f64_e32 v[22:23], s[76:77], v[10:11]
	ds_read_b128 v[8:11], v30 offset:80
	s_waitcnt lgkmcnt(1)
	v_mul_f64 v[16:17], v[6:7], s[82:83]
	v_mul_f64 v[34:35], v[4:5], s[82:83]
	v_fma_f64 v[32:33], v[4:5], s[80:81], -v[16:17]
	v_fmac_f64_e32 v[34:35], s[80:81], v[6:7]
	s_load_dwordx16 s[68:83], s[0:1], 0x100
	ds_read_b128 v[4:7], v30 offset:96
	s_waitcnt lgkmcnt(0)
	v_mul_f64 v[16:17], v[10:11], s[70:71]
	v_mul_f64 v[38:39], v[8:9], s[70:71]
	v_fma_f64 v[36:37], v[8:9], s[68:69], -v[16:17]
	v_fmac_f64_e32 v[38:39], s[68:69], v[10:11]
	ds_read_b128 v[8:11], v30 offset:112
	v_mul_f64 v[16:17], v[6:7], s[74:75]
	v_mul_f64 v[42:43], v[4:5], s[74:75]
	v_fma_f64 v[40:41], v[4:5], s[72:73], -v[16:17]
	v_fmac_f64_e32 v[42:43], s[72:73], v[6:7]
	ds_read_b128 v[4:7], v30 offset:128
	s_waitcnt lgkmcnt(1)
	v_mul_f64 v[16:17], v[10:11], s[78:79]
	v_fma_f64 v[44:45], v[8:9], s[76:77], -v[16:17]
	v_mul_f64 v[46:47], v[8:9], s[78:79]
	v_fmac_f64_e32 v[46:47], s[76:77], v[10:11]
	s_waitcnt lgkmcnt(0)
	v_mul_f64 v[16:17], v[6:7], s[82:83]
	v_mul_f64 v[50:51], v[4:5], s[82:83]
	ds_read_b128 v[8:11], v30 offset:144
	v_fma_f64 v[48:49], v[4:5], s[80:81], -v[16:17]
	v_fmac_f64_e32 v[50:51], s[80:81], v[6:7]
	ds_read_b128 v[4:7], v30
	v_mad_u64_u32 v[16:17], s[2:3], s30, v24, 0
	v_mov_b32_e32 v18, v17
	v_mad_u64_u32 v[18:19], s[2:3], s31, v24, v[18:19]
	s_waitcnt lgkmcnt(0)
	v_mul_f64 v[52:53], v[6:7], s[26:27]
	v_mul_f64 v[54:55], v[4:5], s[26:27]
	v_fma_f64 v[52:53], v[4:5], s[24:25], -v[52:53]
	v_fmac_f64_e32 v[54:55], s[24:25], v[6:7]
	ds_write_b128 v30, v[52:55]
	ds_write_b128 v30, v[12:15] offset:16
	ds_write_b128 v30, v[0:3] offset:32
	;; [unrolled: 1-line block ×4, first 2 shown]
	s_load_dwordx2 s[68:69], s[4:5], 0x38
	s_mov_b32 s24, 0xfd768dbf
	s_load_dwordx8 s[0:7], s[0:1], 0x140
	ds_write_b128 v30, v[36:39] offset:80
	ds_write_b128 v30, v[40:43] offset:96
	;; [unrolled: 1-line block ×4, first 2 shown]
	ds_read_b128 v[0:3], v30 offset:160
	s_mov_b32 s25, 0xbfd207e7
	v_mov_b32_e32 v17, v18
	s_waitcnt lgkmcnt(0)
	v_mul_f64 v[4:5], v[10:11], s[2:3]
	v_mul_f64 v[6:7], v[8:9], s[2:3]
	v_fma_f64 v[4:5], v[8:9], s[0:1], -v[4:5]
	v_fmac_f64_e32 v[6:7], s[0:1], v[10:11]
	ds_write_b128 v30, v[4:7] offset:144
	v_mul_f64 v[4:5], v[2:3], s[6:7]
	v_mul_f64 v[6:7], v[0:1], s[6:7]
	v_fma_f64 v[4:5], v[0:1], s[4:5], -v[4:5]
	v_fmac_f64_e32 v[6:7], s[4:5], v[2:3]
	ds_write_b128 v30, v[4:7] offset:160
	s_waitcnt lgkmcnt(0)
	s_barrier
	ds_read_b128 v[20:23], v30
	ds_read_b128 v[32:35], v30 offset:16
	ds_read_b128 v[36:39], v30 offset:32
	;; [unrolled: 1-line block ×10, first 2 shown]
	s_waitcnt lgkmcnt(9)
	v_add_f64 v[0:1], v[20:21], v[32:33]
	s_waitcnt lgkmcnt(8)
	v_add_f64 v[0:1], v[0:1], v[36:37]
	;; [unrolled: 2-line block ×5, first 2 shown]
	v_add_f64 v[2:3], v[22:23], v[34:35]
	s_waitcnt lgkmcnt(4)
	v_add_f64 v[0:1], v[0:1], v[8:9]
	v_add_f64 v[2:3], v[2:3], v[38:39]
	s_waitcnt lgkmcnt(3)
	v_add_f64 v[0:1], v[0:1], v[44:45]
	;; [unrolled: 3-line block ×3, first 2 shown]
	s_waitcnt lgkmcnt(0)
	v_add_f64 v[62:63], v[34:35], v[58:59]
	s_mov_b32 s0, 0xf8bb580b
	v_add_f64 v[2:3], v[2:3], v[14:15]
	v_add_f64 v[0:1], v[0:1], v[52:53]
	;; [unrolled: 1-line block ×3, first 2 shown]
	v_add_f64 v[32:33], v[32:33], -v[56:57]
	v_add_f64 v[34:35], v[34:35], -v[58:59]
	s_mov_b32 s1, 0xbfe14ced
	v_mul_f64 v[64:65], v[62:63], s[88:89]
	v_add_f64 v[2:3], v[2:3], v[6:7]
	v_add_f64 v[0:1], v[0:1], v[56:57]
	v_mul_f64 v[56:57], v[34:35], s[0:1]
	v_fma_f64 v[66:67], s[86:87], v[32:33], v[64:65]
	v_fmac_f64_e32 v[64:65], s[0:1], v[32:33]
	s_mov_b32 s0, 0x8eee2c13
	v_add_f64 v[2:3], v[2:3], v[10:11]
	s_mov_b32 s1, 0xbfed1bb4
	v_mul_f64 v[72:73], v[62:63], s[34:35]
	v_add_f64 v[2:3], v[2:3], v[46:47]
	v_mul_f64 v[68:69], v[34:35], s[0:1]
	v_fma_f64 v[74:75], s[10:11], v[32:33], v[72:73]
	v_fmac_f64_e32 v[72:73], s[0:1], v[32:33]
	s_mov_b32 s0, 0x43842ef
	v_add_f64 v[2:3], v[2:3], v[50:51]
	s_mov_b32 s1, 0xbfefac9e
	v_add_f64 v[2:3], v[2:3], v[54:55]
	v_mul_f64 v[76:77], v[34:35], s[0:1]
	v_mul_f64 v[84:85], v[34:35], s[90:91]
	;; [unrolled: 1-line block ×3, first 2 shown]
	v_add_f64 v[2:3], v[2:3], v[58:59]
	v_fma_f64 v[58:59], s[88:89], v[60:61], v[56:57]
	v_fma_f64 v[56:57], v[60:61], s[88:89], -v[56:57]
	v_fma_f64 v[70:71], s[34:35], v[60:61], v[68:69]
	v_fma_f64 v[68:69], v[60:61], s[34:35], -v[68:69]
	s_mov_b32 s4, 0x8eee2c13
	v_fma_f64 v[78:79], s[84:85], v[60:61], v[76:77]
	v_mul_f64 v[80:81], v[62:63], s[84:85]
	v_fma_f64 v[76:77], v[60:61], s[84:85], -v[76:77]
	v_fma_f64 v[86:87], s[92:93], v[60:61], v[84:85]
	v_fma_f64 v[84:85], v[60:61], s[92:93], -v[84:85]
	v_fma_f64 v[92:93], s[8:9], v[60:61], v[34:35]
	v_fma_f64 v[34:35], v[60:61], s[8:9], -v[34:35]
	v_add_f64 v[58:59], v[20:21], v[58:59]
	v_add_f64 v[56:57], v[20:21], v[56:57]
	v_add_f64 v[70:71], v[20:21], v[70:71]
	v_add_f64 v[68:69], v[20:21], v[68:69]
	s_mov_b32 s5, 0xbfed1bb4
	v_add_f64 v[78:79], v[20:21], v[78:79]
	v_fma_f64 v[82:83], s[94:95], v[32:33], v[80:81]
	v_add_f64 v[76:77], v[20:21], v[76:77]
	v_fmac_f64_e32 v[80:81], s[0:1], v[32:33]
	v_add_f64 v[86:87], v[20:21], v[86:87]
	v_mul_f64 v[88:89], v[62:63], s[92:93]
	s_mov_b32 s1, 0x3fe82f19
	s_mov_b32 s0, s90
	v_add_f64 v[84:85], v[20:21], v[84:85]
	v_add_f64 v[92:93], v[20:21], v[92:93]
	v_mul_f64 v[62:63], v[62:63], s[8:9]
	v_add_f64 v[20:21], v[20:21], v[34:35]
	v_add_f64 v[34:35], v[38:39], v[54:55]
	v_add_f64 v[38:39], v[38:39], -v[54:55]
	v_fma_f64 v[90:91], s[0:1], v[32:33], v[88:89]
	v_fmac_f64_e32 v[88:89], s[90:91], v[32:33]
	v_fma_f64 v[94:95], vcc, v[32:33], v[62:63]
	v_fmac_f64_e32 v[62:63], s[24:25], v[32:33]
	v_add_f64 v[32:33], v[36:37], v[52:53]
	v_add_f64 v[36:37], v[36:37], -v[52:53]
	v_mul_f64 v[52:53], v[38:39], s[4:5]
	v_fma_f64 v[54:55], s[34:35], v[32:33], v[52:53]
	v_add_f64 v[54:55], v[54:55], v[58:59]
	v_mul_f64 v[58:59], v[34:35], s[34:35]
	v_add_f64 v[64:65], v[22:23], v[64:65]
	v_fma_f64 v[60:61], s[10:11], v[36:37], v[58:59]
	v_fma_f64 v[52:53], v[32:33], s[34:35], -v[52:53]
	v_fmac_f64_e32 v[58:59], s[4:5], v[36:37]
	v_add_f64 v[52:53], v[52:53], v[56:57]
	v_add_f64 v[56:57], v[58:59], v[64:65]
	v_mul_f64 v[58:59], v[38:39], s[90:91]
	v_add_f64 v[66:67], v[22:23], v[66:67]
	v_add_f64 v[74:75], v[22:23], v[74:75]
	;; [unrolled: 1-line block ×9, first 2 shown]
	v_fma_f64 v[62:63], s[92:93], v[32:33], v[58:59]
	v_mul_f64 v[64:65], v[34:35], s[92:93]
	v_fma_f64 v[58:59], v[32:33], s[92:93], -v[58:59]
	v_add_f64 v[60:61], v[60:61], v[66:67]
	v_fma_f64 v[66:67], s[0:1], v[36:37], v[64:65]
	v_add_f64 v[58:59], v[58:59], v[68:69]
	v_fmac_f64_e32 v[64:65], s[90:91], v[36:37]
	v_mul_f64 v[68:69], v[38:39], vcc
	v_add_f64 v[62:63], v[62:63], v[70:71]
	v_add_f64 v[64:65], v[64:65], v[72:73]
	v_fma_f64 v[70:71], s[8:9], v[32:33], v[68:69]
	v_mul_f64 v[72:73], v[34:35], s[8:9]
	v_fma_f64 v[68:69], v[32:33], s[8:9], -v[68:69]
	s_mov_b32 s6, 0xf8bb580b
	v_add_f64 v[66:67], v[66:67], v[74:75]
	v_fma_f64 v[74:75], s[24:25], v[36:37], v[72:73]
	v_add_f64 v[68:69], v[68:69], v[76:77]
	v_fmac_f64_e32 v[72:73], vcc, v[36:37]
	v_mul_f64 v[76:77], v[38:39], s[94:95]
	s_mov_b32 s7, 0xbfe14ced
	s_mov_b32 s2, 0x43842ef
	v_add_f64 v[70:71], v[70:71], v[78:79]
	v_add_f64 v[72:73], v[72:73], v[80:81]
	v_fma_f64 v[78:79], s[84:85], v[32:33], v[76:77]
	v_mul_f64 v[80:81], v[34:35], s[84:85]
	v_fma_f64 v[76:77], v[32:33], s[84:85], -v[76:77]
	v_mul_f64 v[38:39], v[38:39], s[86:87]
	v_mul_f64 v[34:35], v[34:35], s[88:89]
	s_mov_b32 s3, 0xbfefac9e
	v_add_f64 v[78:79], v[78:79], v[86:87]
	v_add_f64 v[76:77], v[76:77], v[84:85]
	v_fma_f64 v[84:85], s[88:89], v[32:33], v[38:39]
	v_fma_f64 v[86:87], s[6:7], v[36:37], v[34:35]
	v_fma_f64 v[32:33], v[32:33], s[88:89], -v[38:39]
	v_fmac_f64_e32 v[34:35], s[86:87], v[36:37]
	v_add_f64 v[38:39], v[42:43], -v[50:51]
	v_add_f64 v[74:75], v[74:75], v[82:83]
	v_fma_f64 v[82:83], s[2:3], v[36:37], v[80:81]
	v_fmac_f64_e32 v[80:81], s[94:95], v[36:37]
	v_add_f64 v[20:21], v[32:33], v[20:21]
	v_add_f64 v[22:23], v[34:35], v[22:23]
	;; [unrolled: 1-line block ×4, first 2 shown]
	v_add_f64 v[36:37], v[40:41], -v[48:49]
	v_mul_f64 v[40:41], v[38:39], s[2:3]
	v_fma_f64 v[42:43], s[84:85], v[32:33], v[40:41]
	v_mul_f64 v[48:49], v[34:35], s[84:85]
	v_fma_f64 v[40:41], v[32:33], s[84:85], -v[40:41]
	v_fma_f64 v[50:51], s[94:95], v[36:37], v[48:49]
	v_add_f64 v[40:41], v[40:41], v[52:53]
	v_fmac_f64_e32 v[48:49], s[2:3], v[36:37]
	v_mul_f64 v[52:53], v[38:39], vcc
	v_add_f64 v[42:43], v[42:43], v[54:55]
	v_add_f64 v[48:49], v[48:49], v[56:57]
	v_fma_f64 v[54:55], s[8:9], v[32:33], v[52:53]
	v_mul_f64 v[56:57], v[34:35], s[8:9]
	v_fma_f64 v[52:53], v[32:33], s[8:9], -v[52:53]
	v_add_f64 v[50:51], v[50:51], v[60:61]
	v_fma_f64 v[60:61], s[24:25], v[36:37], v[56:57]
	v_add_f64 v[52:53], v[52:53], v[58:59]
	v_fmac_f64_e32 v[56:57], vcc, v[36:37]
	v_mul_f64 v[58:59], v[38:39], s[10:11]
	v_add_f64 v[54:55], v[54:55], v[62:63]
	v_add_f64 v[56:57], v[56:57], v[64:65]
	v_fma_f64 v[62:63], s[34:35], v[32:33], v[58:59]
	v_mul_f64 v[64:65], v[34:35], s[34:35]
	v_fma_f64 v[58:59], v[32:33], s[34:35], -v[58:59]
	v_add_f64 v[60:61], v[60:61], v[66:67]
	v_fma_f64 v[66:67], s[4:5], v[36:37], v[64:65]
	v_add_f64 v[58:59], v[58:59], v[68:69]
	v_fmac_f64_e32 v[64:65], s[10:11], v[36:37]
	v_mul_f64 v[68:69], v[38:39], s[6:7]
	v_add_f64 v[62:63], v[62:63], v[70:71]
	v_add_f64 v[64:65], v[64:65], v[72:73]
	v_fma_f64 v[70:71], s[88:89], v[32:33], v[68:69]
	v_mul_f64 v[72:73], v[34:35], s[88:89]
	v_mul_f64 v[34:35], v[34:35], s[92:93]
	v_add_f64 v[70:71], v[70:71], v[78:79]
	v_fma_f64 v[68:69], v[32:33], s[88:89], -v[68:69]
	v_mul_f64 v[38:39], v[38:39], s[90:91]
	v_fma_f64 v[78:79], s[0:1], v[36:37], v[34:35]
	v_fmac_f64_e32 v[34:35], s[90:91], v[36:37]
	v_add_f64 v[68:69], v[68:69], v[76:77]
	v_fma_f64 v[76:77], s[92:93], v[32:33], v[38:39]
	v_fma_f64 v[32:33], v[32:33], s[92:93], -v[38:39]
	v_add_f64 v[22:23], v[34:35], v[22:23]
	v_add_f64 v[34:35], v[14:15], v[46:47]
	v_add_f64 v[14:15], v[14:15], -v[46:47]
	v_add_f64 v[66:67], v[66:67], v[74:75]
	v_fma_f64 v[74:75], s[86:87], v[36:37], v[72:73]
	v_fmac_f64_e32 v[72:73], s[6:7], v[36:37]
	v_add_f64 v[20:21], v[32:33], v[20:21]
	v_add_f64 v[32:33], v[12:13], v[44:45]
	v_mul_f64 v[36:37], v[14:15], s[90:91]
	v_fma_f64 v[38:39], s[92:93], v[32:33], v[36:37]
	v_add_f64 v[12:13], v[12:13], -v[44:45]
	v_add_f64 v[38:39], v[38:39], v[42:43]
	v_mul_f64 v[42:43], v[34:35], s[92:93]
	v_fma_f64 v[44:45], s[0:1], v[12:13], v[42:43]
	v_fma_f64 v[36:37], v[32:33], s[92:93], -v[36:37]
	v_fmac_f64_e32 v[42:43], s[90:91], v[12:13]
	v_add_f64 v[36:37], v[36:37], v[40:41]
	v_add_f64 v[40:41], v[42:43], v[48:49]
	v_mul_f64 v[42:43], v[14:15], s[94:95]
	v_fma_f64 v[46:47], s[84:85], v[32:33], v[42:43]
	v_fma_f64 v[42:43], v[32:33], s[84:85], -v[42:43]
	v_mul_f64 v[48:49], v[34:35], s[84:85]
	v_add_f64 v[42:43], v[42:43], v[52:53]
	v_mul_f64 v[52:53], v[14:15], s[6:7]
	v_add_f64 v[44:45], v[44:45], v[50:51]
	v_add_f64 v[46:47], v[46:47], v[54:55]
	v_fma_f64 v[50:51], s[2:3], v[12:13], v[48:49]
	v_fmac_f64_e32 v[48:49], s[94:95], v[12:13]
	v_fma_f64 v[54:55], s[88:89], v[32:33], v[52:53]
	v_fma_f64 v[52:53], v[32:33], s[88:89], -v[52:53]
	v_add_f64 v[48:49], v[48:49], v[56:57]
	v_mul_f64 v[56:57], v[34:35], s[88:89]
	v_add_f64 v[52:53], v[52:53], v[58:59]
	v_mul_f64 v[58:59], v[14:15], s[24:25]
	v_add_f64 v[82:83], v[82:83], v[90:91]
	v_add_f64 v[84:85], v[84:85], v[92:93]
	;; [unrolled: 1-line block ×4, first 2 shown]
	v_fma_f64 v[60:61], s[86:87], v[12:13], v[56:57]
	v_fmac_f64_e32 v[56:57], s[6:7], v[12:13]
	v_fma_f64 v[62:63], s[8:9], v[32:33], v[58:59]
	v_fma_f64 v[58:59], v[32:33], s[8:9], -v[58:59]
	v_mul_f64 v[14:15], v[14:15], s[10:11]
	v_add_f64 v[80:81], v[80:81], v[88:89]
	v_add_f64 v[86:87], v[86:87], v[94:95]
	;; [unrolled: 1-line block ×5, first 2 shown]
	v_mul_f64 v[64:65], v[34:35], s[8:9]
	v_add_f64 v[58:59], v[58:59], v[68:69]
	v_fma_f64 v[68:69], s[34:35], v[32:33], v[14:15]
	v_mul_f64 v[34:35], v[34:35], s[34:35]
	v_add_f64 v[82:83], v[6:7], -v[10:11]
	v_add_f64 v[72:73], v[72:73], v[80:81]
	v_add_f64 v[78:79], v[78:79], v[86:87]
	;; [unrolled: 1-line block ×4, first 2 shown]
	v_fma_f64 v[70:71], s[4:5], v[12:13], v[34:35]
	v_add_f64 v[76:77], v[4:5], v[8:9]
	v_add_f64 v[80:81], v[4:5], -v[8:9]
	v_mul_f64 v[8:9], v[82:83], s[24:25]
	v_add_f64 v[60:61], v[60:61], v[66:67]
	v_fma_f64 v[66:67], vcc, v[12:13], v[64:65]
	v_fmac_f64_e32 v[64:65], s[24:25], v[12:13]
	v_add_f64 v[70:71], v[70:71], v[78:79]
	v_fma_f64 v[14:15], v[32:33], s[34:35], -v[14:15]
	v_add_f64 v[78:79], v[6:7], v[10:11]
	v_fma_f64 v[4:5], s[8:9], v[76:77], v[8:9]
	v_fma_f64 v[8:9], v[76:77], s[8:9], -v[8:9]
	v_add_f64 v[64:65], v[64:65], v[72:73]
	v_add_f64 v[72:73], v[14:15], v[20:21]
	v_fmac_f64_e32 v[34:35], s[10:11], v[12:13]
	v_mul_f64 v[10:11], v[78:79], s[8:9]
	v_add_f64 v[8:9], v[8:9], v[36:37]
	v_mul_f64 v[20:21], v[82:83], s[86:87]
	v_mul_f64 v[36:37], v[82:83], s[90:91]
	v_add_f64 v[66:67], v[66:67], v[74:75]
	v_add_f64 v[74:75], v[34:35], v[22:23]
	v_fma_f64 v[6:7], vcc, v[80:81], v[10:11]
	v_fma_f64 v[12:13], s[88:89], v[76:77], v[20:21]
	v_mul_f64 v[22:23], v[78:79], s[88:89]
	v_fma_f64 v[32:33], s[92:93], v[76:77], v[36:37]
	v_fma_f64 v[36:37], v[76:77], s[92:93], -v[36:37]
	v_add_f64 v[4:5], v[4:5], v[38:39]
	v_add_f64 v[6:7], v[6:7], v[44:45]
	v_fmac_f64_e32 v[10:11], s[24:25], v[80:81]
	v_add_f64 v[12:13], v[12:13], v[46:47]
	v_fma_f64 v[14:15], s[6:7], v[80:81], v[22:23]
	v_fma_f64 v[20:21], v[76:77], s[88:89], -v[20:21]
	v_fmac_f64_e32 v[22:23], s[86:87], v[80:81]
	v_add_f64 v[32:33], v[32:33], v[54:55]
	v_mul_f64 v[38:39], v[78:79], s[92:93]
	v_add_f64 v[36:37], v[36:37], v[52:53]
	v_mul_f64 v[44:45], v[82:83], s[10:11]
	v_mul_f64 v[46:47], v[78:79], s[34:35]
	;; [unrolled: 1-line block ×4, first 2 shown]
	v_add_f64 v[10:11], v[10:11], v[40:41]
	v_add_f64 v[14:15], v[14:15], v[50:51]
	;; [unrolled: 1-line block ×4, first 2 shown]
	v_fma_f64 v[34:35], s[0:1], v[80:81], v[38:39]
	v_fmac_f64_e32 v[38:39], s[90:91], v[80:81]
	v_fma_f64 v[40:41], s[34:35], v[76:77], v[44:45]
	v_fma_f64 v[42:43], s[4:5], v[80:81], v[46:47]
	v_fma_f64 v[44:45], v[76:77], s[34:35], -v[44:45]
	v_fmac_f64_e32 v[46:47], s[10:11], v[80:81]
	v_fma_f64 v[48:49], s[84:85], v[76:77], v[52:53]
	v_fma_f64 v[50:51], s[94:95], v[80:81], v[54:55]
	v_fma_f64 v[52:53], v[76:77], s[84:85], -v[52:53]
	v_fmac_f64_e32 v[54:55], s[2:3], v[80:81]
	v_add_f64 v[34:35], v[34:35], v[60:61]
	v_add_f64 v[38:39], v[38:39], v[56:57]
	;; [unrolled: 1-line block ×10, first 2 shown]
	ds_write_b128 v30, v[0:3]
	ds_write_b128 v30, v[4:7] offset:16
	ds_write_b128 v30, v[12:15] offset:32
	;; [unrolled: 1-line block ×10, first 2 shown]
	s_waitcnt lgkmcnt(0)
	s_barrier
	ds_read_b128 v[0:3], v30
	s_mov_b32 s0, 0x745d1746
	ds_read_b128 v[4:7], v30 offset:16
	ds_read_b128 v[8:11], v30 offset:32
	;; [unrolled: 1-line block ×3, first 2 shown]
	s_mov_b32 s1, 0x3fb745d1
	s_lshl_b64 s[2:3], s[28:29], 4
	s_waitcnt lgkmcnt(3)
	v_mul_f64 v[18:19], s[54:55], v[2:3]
	v_fmac_f64_e32 v[18:19], s[52:53], v[0:1]
	v_mul_f64 v[0:1], s[54:55], v[0:1]
	v_fma_f64 v[0:1], s[52:53], v[2:3], -v[0:1]
	v_mul_f64 v[20:21], v[0:1], s[0:1]
	v_lshlrev_b64 v[0:1], 4, v[16:17]
	v_mov_b32_e32 v2, s69
	v_add_co_u32_e32 v0, vcc, s68, v0
	v_addc_co_u32_e32 v1, vcc, v2, v1, vcc
	s_waitcnt lgkmcnt(2)
	v_mul_f64 v[2:3], s[58:59], v[6:7]
	v_fmac_f64_e32 v[2:3], s[56:57], v[4:5]
	v_mul_f64 v[4:5], s[58:59], v[4:5]
	v_fma_f64 v[4:5], s[56:57], v[6:7], -v[4:5]
	v_mov_b32_e32 v7, s3
	v_add_co_u32_e32 v6, vcc, s2, v0
	v_mul_f64 v[18:19], v[18:19], s[0:1]
	v_mul_f64 v[2:3], v[2:3], s[0:1]
	v_mul_f64 v[4:5], v[4:5], s[0:1]
	v_addc_co_u32_e32 v7, vcc, v1, v7, vcc
	global_store_dwordx4 v[0:1], v[18:21], off
	global_store_dwordx4 v[6:7], v[2:5], off
	s_lshl_b64 s[2:3], s[28:29], 5
	s_waitcnt lgkmcnt(1)
	v_mul_f64 v[2:3], s[62:63], v[10:11]
	v_mul_f64 v[4:5], s[62:63], v[8:9]
	v_fmac_f64_e32 v[2:3], s[60:61], v[8:9]
	v_fma_f64 v[4:5], s[60:61], v[10:11], -v[4:5]
	v_mov_b32_e32 v7, s3
	v_add_co_u32_e32 v6, vcc, s2, v0
	v_mul_f64 v[2:3], v[2:3], s[0:1]
	v_mul_f64 v[4:5], v[4:5], s[0:1]
	v_addc_co_u32_e32 v7, vcc, v1, v7, vcc
	global_store_dwordx4 v[6:7], v[2:5], off
	ds_read_b128 v[6:9], v30 offset:64
	s_waitcnt lgkmcnt(1)
	v_mul_f64 v[2:3], s[66:67], v[14:15]
	v_mad_u64_u32 v[10:11], s[2:3], s28, 48, v[0:1]
	v_fmac_f64_e32 v[2:3], s[64:65], v[12:13]
	v_mul_f64 v[4:5], s[66:67], v[12:13]
	v_mov_b32_e32 v12, v11
	v_fma_f64 v[4:5], s[64:65], v[14:15], -v[4:5]
	v_mad_u64_u32 v[12:13], s[2:3], s29, 48, v[12:13]
	v_mul_f64 v[2:3], v[2:3], s[0:1]
	v_mul_f64 v[4:5], v[4:5], s[0:1]
	v_mov_b32_e32 v11, v12
	global_store_dwordx4 v[10:11], v[2:5], off
	ds_read_b128 v[2:5], v30 offset:80
	s_waitcnt lgkmcnt(1)
	v_mul_f64 v[10:11], s[38:39], v[8:9]
	v_fmac_f64_e32 v[10:11], s[36:37], v[6:7]
	v_mul_f64 v[6:7], s[38:39], v[6:7]
	v_fma_f64 v[6:7], s[36:37], v[8:9], -v[6:7]
	s_lshl_b64 s[2:3], s[28:29], 6
	v_mul_f64 v[12:13], v[6:7], s[0:1]
	v_mov_b32_e32 v7, s3
	v_add_co_u32_e32 v6, vcc, s2, v0
	v_mul_f64 v[10:11], v[10:11], s[0:1]
	v_addc_co_u32_e32 v7, vcc, v1, v7, vcc
	global_store_dwordx4 v[6:7], v[10:13], off
	s_waitcnt lgkmcnt(0)
	v_mul_f64 v[6:7], s[42:43], v[4:5]
	v_fmac_f64_e32 v[6:7], s[40:41], v[2:3]
	v_mul_f64 v[2:3], s[42:43], v[2:3]
	v_fma_f64 v[2:3], s[40:41], v[4:5], -v[2:3]
	v_mul_f64 v[8:9], v[2:3], s[0:1]
	ds_read_b128 v[2:5], v30 offset:96
	v_mad_u64_u32 v[10:11], s[2:3], s28, v28, v[0:1]
	s_mul_i32 s2, s29, 0x50
	v_mul_f64 v[6:7], v[6:7], s[0:1]
	v_add_u32_e32 v11, s2, v11
	global_store_dwordx4 v[10:11], v[6:9], off
	ds_read_b128 v[6:9], v30 offset:112
	s_waitcnt lgkmcnt(1)
	v_mul_f64 v[10:11], s[46:47], v[4:5]
	v_fmac_f64_e32 v[10:11], s[44:45], v[2:3]
	v_mul_f64 v[2:3], s[46:47], v[2:3]
	v_fma_f64 v[2:3], s[44:45], v[4:5], -v[2:3]
	v_mul_f64 v[12:13], v[2:3], s[0:1]
	v_mad_u64_u32 v[2:3], s[2:3], s28, v25, v[0:1]
	s_mul_i32 s2, s29, 0x60
	v_mul_f64 v[10:11], v[10:11], s[0:1]
	v_add_u32_e32 v3, s2, v3
	global_store_dwordx4 v[2:3], v[10:13], off
	s_waitcnt lgkmcnt(0)
	v_mul_f64 v[2:3], s[50:51], v[8:9]
	v_mul_f64 v[4:5], s[50:51], v[6:7]
	v_fmac_f64_e32 v[2:3], s[48:49], v[6:7]
	v_fma_f64 v[4:5], s[48:49], v[8:9], -v[4:5]
	ds_read_b128 v[6:9], v30 offset:128
	v_mad_u64_u32 v[10:11], s[2:3], s28, v26, v[0:1]
	s_mul_i32 s2, s29, 0x70
	v_mul_f64 v[2:3], v[2:3], s[0:1]
	v_mul_f64 v[4:5], v[4:5], s[0:1]
	v_add_u32_e32 v11, s2, v11
	global_store_dwordx4 v[10:11], v[2:5], off
	ds_read_b128 v[2:5], v30 offset:144
	s_waitcnt lgkmcnt(1)
	v_mul_f64 v[10:11], s[14:15], v[8:9]
	v_fmac_f64_e32 v[10:11], s[12:13], v[6:7]
	v_mul_f64 v[6:7], s[14:15], v[6:7]
	v_fma_f64 v[6:7], s[12:13], v[8:9], -v[6:7]
	s_lshl_b64 s[2:3], s[28:29], 7
	v_mul_f64 v[12:13], v[6:7], s[0:1]
	v_mov_b32_e32 v7, s3
	v_add_co_u32_e32 v6, vcc, s2, v0
	v_mul_f64 v[10:11], v[10:11], s[0:1]
	v_addc_co_u32_e32 v7, vcc, v1, v7, vcc
	global_store_dwordx4 v[6:7], v[10:13], off
	s_waitcnt lgkmcnt(0)
	v_mul_f64 v[6:7], s[18:19], v[4:5]
	v_fmac_f64_e32 v[6:7], s[16:17], v[2:3]
	v_mul_f64 v[2:3], s[18:19], v[2:3]
	v_fma_f64 v[2:3], s[16:17], v[4:5], -v[2:3]
	v_mul_f64 v[8:9], v[2:3], s[0:1]
	ds_read_b128 v[2:5], v30 offset:160
	v_mad_u64_u32 v[10:11], s[2:3], s28, v27, v[0:1]
	s_mul_i32 s2, s29, 0x90
	v_mul_f64 v[6:7], v[6:7], s[0:1]
	v_add_u32_e32 v11, s2, v11
	global_store_dwordx4 v[10:11], v[6:9], off
	s_waitcnt lgkmcnt(0)
	v_mul_f64 v[6:7], s[22:23], v[4:5]
	v_fmac_f64_e32 v[6:7], s[20:21], v[2:3]
	v_mul_f64 v[2:3], s[22:23], v[2:3]
	v_fma_f64 v[2:3], s[20:21], v[4:5], -v[2:3]
	v_mul_f64 v[6:7], v[6:7], s[0:1]
	v_mul_f64 v[8:9], v[2:3], s[0:1]
	v_mad_u64_u32 v[0:1], s[0:1], s28, v29, v[0:1]
	s_mul_i32 s0, s29, 0xa0
	v_add_u32_e32 v1, s0, v1
	global_store_dwordx4 v[0:1], v[6:9], off
.LBB0_2:
	s_endpgm
	.section	.rodata,"a",@progbits
	.p2align	6, 0x0
	.amdhsa_kernel bluestein_single_back_len11_dim1_dp_op_CI_CI
		.amdhsa_group_segment_fixed_size 22528
		.amdhsa_private_segment_fixed_size 0
		.amdhsa_kernarg_size 104
		.amdhsa_user_sgpr_count 6
		.amdhsa_user_sgpr_private_segment_buffer 1
		.amdhsa_user_sgpr_dispatch_ptr 0
		.amdhsa_user_sgpr_queue_ptr 0
		.amdhsa_user_sgpr_kernarg_segment_ptr 1
		.amdhsa_user_sgpr_dispatch_id 0
		.amdhsa_user_sgpr_flat_scratch_init 0
		.amdhsa_user_sgpr_kernarg_preload_length 0
		.amdhsa_user_sgpr_kernarg_preload_offset 0
		.amdhsa_user_sgpr_private_segment_size 0
		.amdhsa_uses_dynamic_stack 0
		.amdhsa_system_sgpr_private_segment_wavefront_offset 0
		.amdhsa_system_sgpr_workgroup_id_x 1
		.amdhsa_system_sgpr_workgroup_id_y 0
		.amdhsa_system_sgpr_workgroup_id_z 0
		.amdhsa_system_sgpr_workgroup_info 0
		.amdhsa_system_vgpr_workitem_id 0
		.amdhsa_next_free_vgpr 96
		.amdhsa_next_free_sgpr 96
		.amdhsa_accum_offset 96
		.amdhsa_reserve_vcc 1
		.amdhsa_reserve_flat_scratch 0
		.amdhsa_float_round_mode_32 0
		.amdhsa_float_round_mode_16_64 0
		.amdhsa_float_denorm_mode_32 3
		.amdhsa_float_denorm_mode_16_64 3
		.amdhsa_dx10_clamp 1
		.amdhsa_ieee_mode 1
		.amdhsa_fp16_overflow 0
		.amdhsa_tg_split 0
		.amdhsa_exception_fp_ieee_invalid_op 0
		.amdhsa_exception_fp_denorm_src 0
		.amdhsa_exception_fp_ieee_div_zero 0
		.amdhsa_exception_fp_ieee_overflow 0
		.amdhsa_exception_fp_ieee_underflow 0
		.amdhsa_exception_fp_ieee_inexact 0
		.amdhsa_exception_int_div_zero 0
	.end_amdhsa_kernel
	.text
.Lfunc_end0:
	.size	bluestein_single_back_len11_dim1_dp_op_CI_CI, .Lfunc_end0-bluestein_single_back_len11_dim1_dp_op_CI_CI
                                        ; -- End function
	.section	.AMDGPU.csdata,"",@progbits
; Kernel info:
; codeLenInByte = 7640
; NumSgprs: 100
; NumVgprs: 96
; NumAgprs: 0
; TotalNumVgprs: 96
; ScratchSize: 0
; MemoryBound: 0
; FloatMode: 240
; IeeeMode: 1
; LDSByteSize: 22528 bytes/workgroup (compile time only)
; SGPRBlocks: 12
; VGPRBlocks: 11
; NumSGPRsForWavesPerEU: 100
; NumVGPRsForWavesPerEU: 96
; AccumOffset: 96
; Occupancy: 1
; WaveLimiterHint : 1
; COMPUTE_PGM_RSRC2:SCRATCH_EN: 0
; COMPUTE_PGM_RSRC2:USER_SGPR: 6
; COMPUTE_PGM_RSRC2:TRAP_HANDLER: 0
; COMPUTE_PGM_RSRC2:TGID_X_EN: 1
; COMPUTE_PGM_RSRC2:TGID_Y_EN: 0
; COMPUTE_PGM_RSRC2:TGID_Z_EN: 0
; COMPUTE_PGM_RSRC2:TIDIG_COMP_CNT: 0
; COMPUTE_PGM_RSRC3_GFX90A:ACCUM_OFFSET: 23
; COMPUTE_PGM_RSRC3_GFX90A:TG_SPLIT: 0
	.text
	.p2alignl 6, 3212836864
	.fill 256, 4, 3212836864
	.type	__hip_cuid_faf60400540a83fc,@object ; @__hip_cuid_faf60400540a83fc
	.section	.bss,"aw",@nobits
	.globl	__hip_cuid_faf60400540a83fc
__hip_cuid_faf60400540a83fc:
	.byte	0                               ; 0x0
	.size	__hip_cuid_faf60400540a83fc, 1

	.ident	"AMD clang version 19.0.0git (https://github.com/RadeonOpenCompute/llvm-project roc-6.4.0 25133 c7fe45cf4b819c5991fe208aaa96edf142730f1d)"
	.section	".note.GNU-stack","",@progbits
	.addrsig
	.addrsig_sym __hip_cuid_faf60400540a83fc
	.amdgpu_metadata
---
amdhsa.kernels:
  - .agpr_count:     0
    .args:
      - .actual_access:  read_only
        .address_space:  global
        .offset:         0
        .size:           8
        .value_kind:     global_buffer
      - .actual_access:  read_only
        .address_space:  global
        .offset:         8
        .size:           8
        .value_kind:     global_buffer
      - .actual_access:  read_only
        .address_space:  global
        .offset:         16
        .size:           8
        .value_kind:     global_buffer
      - .actual_access:  read_only
        .address_space:  global
        .offset:         24
        .size:           8
        .value_kind:     global_buffer
      - .actual_access:  read_only
        .address_space:  global
        .offset:         32
        .size:           8
        .value_kind:     global_buffer
      - .offset:         40
        .size:           8
        .value_kind:     by_value
      - .address_space:  global
        .offset:         48
        .size:           8
        .value_kind:     global_buffer
      - .address_space:  global
        .offset:         56
        .size:           8
        .value_kind:     global_buffer
      - .address_space:  global
        .offset:         64
        .size:           8
        .value_kind:     global_buffer
      - .address_space:  global
        .offset:         72
        .size:           8
        .value_kind:     global_buffer
      - .offset:         80
        .size:           4
        .value_kind:     by_value
      - .address_space:  global
        .offset:         88
        .size:           8
        .value_kind:     global_buffer
      - .address_space:  global
        .offset:         96
        .size:           8
        .value_kind:     global_buffer
    .group_segment_fixed_size: 22528
    .kernarg_segment_align: 8
    .kernarg_segment_size: 104
    .language:       OpenCL C
    .language_version:
      - 2
      - 0
    .max_flat_workgroup_size: 128
    .name:           bluestein_single_back_len11_dim1_dp_op_CI_CI
    .private_segment_fixed_size: 0
    .sgpr_count:     100
    .sgpr_spill_count: 0
    .symbol:         bluestein_single_back_len11_dim1_dp_op_CI_CI.kd
    .uniform_work_group_size: 1
    .uses_dynamic_stack: false
    .vgpr_count:     96
    .vgpr_spill_count: 0
    .wavefront_size: 64
amdhsa.target:   amdgcn-amd-amdhsa--gfx90a
amdhsa.version:
  - 1
  - 2
...

	.end_amdgpu_metadata
